;; amdgpu-corpus repo=zjin-lcf/HeCBench kind=compiled arch=gfx1100 opt=O3
	.text
	.amdgcn_target "amdgcn-amd-amdhsa--gfx1100"
	.amdhsa_code_object_version 6
	.section	.text._Z14welford_kernelIfffEvPKT_PT1_S4_iii,"axG",@progbits,_Z14welford_kernelIfffEvPKT_PT1_S4_iii,comdat
	.protected	_Z14welford_kernelIfffEvPKT_PT1_S4_iii ; -- Begin function _Z14welford_kernelIfffEvPKT_PT1_S4_iii
	.globl	_Z14welford_kernelIfffEvPKT_PT1_S4_iii
	.p2align	8
	.type	_Z14welford_kernelIfffEvPKT_PT1_S4_iii,@function
_Z14welford_kernelIfffEvPKT_PT1_S4_iii: ; @_Z14welford_kernelIfffEvPKT_PT1_S4_iii
; %bb.0:
	s_clause 0x1
	s_load_b256 s[4:11], s[0:1], 0x8
	s_load_b32 s3, s[0:1], 0x34
	v_bfe_u32 v4, v0, 10, 10
	v_dual_mov_b32 v1, 0 :: v_dual_and_b32 v0, 0x3ff, v0
	v_dual_mov_b32 v3, 0 :: v_dual_mov_b32 v2, 0
	s_mov_b32 s2, s15
	s_mov_b32 s14, exec_lo
	s_waitcnt lgkmcnt(0)
	s_lshr_b32 s11, s3, 16
	s_and_b32 s3, s3, 0xffff
	v_cmpx_gt_i32_e64 s8, v4
	s_cbranch_execz .LBB0_8
; %bb.1:
	s_load_b64 s[12:13], s[0:1], 0x0
	v_mad_u64_u32 v[1:2], null, v4, s9, s[2:3]
	v_cmp_gt_i32_e64 s0, s10, v0
	v_dual_mov_b32 v6, v4 :: v_dual_mov_b32 v3, 0
	s_mul_i32 s9, s10, s9
	s_mov_b32 s1, 0
	v_mov_b32_e32 v2, 0
	s_delay_alu instid0(VALU_DEP_4)
	v_mul_lo_u32 v5, s10, v1
	v_mov_b32_e32 v1, 0
	s_mul_i32 s9, s9, s11
	s_branch .LBB0_3
.LBB0_2:                                ;   in Loop: Header=BB0_3 Depth=1
	s_or_b32 exec_lo, exec_lo, s15
	v_add_nc_u32_e32 v6, s11, v6
	v_add_nc_u32_e32 v5, s9, v5
	s_delay_alu instid0(VALU_DEP_2) | instskip(SKIP_1) | instid1(SALU_CYCLE_1)
	v_cmp_le_i32_e32 vcc_lo, s8, v6
	s_or_b32 s1, vcc_lo, s1
	s_and_not1_b32 exec_lo, exec_lo, s1
	s_cbranch_execz .LBB0_7
.LBB0_3:                                ; =>This Loop Header: Depth=1
                                        ;     Child Loop BB0_5 Depth 2
	s_and_saveexec_b32 s15, s0
	s_cbranch_execz .LBB0_2
; %bb.4:                                ;   in Loop: Header=BB0_3 Depth=1
	v_mov_b32_e32 v7, v0
	s_mov_b32 s16, 0
	s_set_inst_prefetch_distance 0x1
	.p2align	6
.LBB0_5:                                ;   Parent Loop BB0_3 Depth=1
                                        ; =>  This Inner Loop Header: Depth=2
	s_delay_alu instid0(VALU_DEP_1) | instskip(SKIP_1) | instid1(VALU_DEP_2)
	v_add_nc_u32_e32 v8, v5, v7
	v_add_nc_u32_e32 v7, s3, v7
	v_ashrrev_i32_e32 v9, 31, v8
	s_delay_alu instid0(VALU_DEP_1) | instskip(SKIP_1) | instid1(VALU_DEP_1)
	v_lshlrev_b64 v[8:9], 2, v[8:9]
	s_waitcnt lgkmcnt(0)
	v_add_co_u32 v8, vcc_lo, s12, v8
	s_delay_alu instid0(VALU_DEP_2) | instskip(SKIP_3) | instid1(VALU_DEP_1)
	v_add_co_ci_u32_e32 v9, vcc_lo, s13, v9, vcc_lo
	global_load_b32 v8, v[8:9], off
	s_waitcnt vmcnt(0)
	v_dual_sub_f32 v10, v8, v1 :: v_dual_add_nc_u32 v3, 1, v3
	v_cvt_f32_i32_e32 v9, v3
	s_delay_alu instid0(VALU_DEP_1) | instskip(SKIP_1) | instid1(VALU_DEP_2)
	v_div_scale_f32 v11, null, v9, v9, v10
	v_div_scale_f32 v14, vcc_lo, v10, v9, v10
	v_rcp_f32_e32 v12, v11
	s_waitcnt_depctr 0xfff
	v_fma_f32 v13, -v11, v12, 1.0
	s_delay_alu instid0(VALU_DEP_1) | instskip(NEXT) | instid1(VALU_DEP_1)
	v_fmac_f32_e32 v12, v13, v12
	v_mul_f32_e32 v13, v14, v12
	s_delay_alu instid0(VALU_DEP_1) | instskip(NEXT) | instid1(VALU_DEP_1)
	v_fma_f32 v15, -v11, v13, v14
	v_fmac_f32_e32 v13, v15, v12
	s_delay_alu instid0(VALU_DEP_1) | instskip(NEXT) | instid1(VALU_DEP_1)
	v_fma_f32 v11, -v11, v13, v14
	v_div_fmas_f32 v11, v11, v12, v13
	v_cmp_le_i32_e32 vcc_lo, s10, v7
	s_delay_alu instid0(VALU_DEP_2) | instskip(SKIP_1) | instid1(VALU_DEP_1)
	v_div_fixup_f32 v9, v11, v9, v10
	s_or_b32 s16, vcc_lo, s16
	v_add_f32_e32 v1, v1, v9
	s_delay_alu instid0(VALU_DEP_1) | instskip(NEXT) | instid1(VALU_DEP_1)
	v_sub_f32_e32 v8, v8, v1
	v_fmac_f32_e32 v2, v10, v8
	s_and_not1_b32 exec_lo, exec_lo, s16
	s_cbranch_execnz .LBB0_5
; %bb.6:                                ;   in Loop: Header=BB0_3 Depth=1
	s_set_inst_prefetch_distance 0x2
	s_or_b32 exec_lo, exec_lo, s16
	s_branch .LBB0_2
.LBB0_7:
	s_or_b32 exec_lo, exec_lo, s1
.LBB0_8:
	s_delay_alu instid0(SALU_CYCLE_1) | instskip(SKIP_3) | instid1(SALU_CYCLE_1)
	s_or_b32 exec_lo, exec_lo, s14
	v_mad_u32_u24 v0, v4, s3, v0
	v_mbcnt_lo_u32_b32 v4, -1, 0
	s_mul_i32 s1, s11, s3
	s_cmp_lt_i32 s1, 33
	s_cbranch_scc1 .LBB0_18
; %bb.9:
	s_delay_alu instid0(VALU_DEP_1) | instskip(SKIP_3) | instid1(VALU_DEP_2)
	v_cmp_gt_u32_e32 vcc_lo, 16, v4
	v_cmp_gt_u32_e64 s0, 30, v4
	v_cndmask_b32_e64 v5, 0, 1, vcc_lo
	v_cmp_gt_u32_e32 vcc_lo, 24, v4
	v_lshlrev_b32_e32 v5, 4, v5
	v_cndmask_b32_e64 v7, 0, 1, vcc_lo
	v_cmp_gt_u32_e32 vcc_lo, 28, v4
	s_delay_alu instid0(VALU_DEP_3)
	v_add_lshl_u32 v5, v5, v4, 2
	v_cndmask_b32_e64 v12, 0, 1, vcc_lo
	ds_bpermute_b32 v6, v5, v3
	ds_bpermute_b32 v15, v5, v1
	;; [unrolled: 1-line block ×3, first 2 shown]
	s_waitcnt lgkmcnt(0)
	v_add_nc_u32_e32 v8, v6, v3
	v_cvt_f32_i32_e32 v6, v6
	v_lshlrev_b32_e32 v12, 2, v12
	v_cvt_f32_i32_e32 v3, v3
	v_sub_f32_e32 v24, v1, v15
	v_max_i32_e32 v9, 1, v8
	v_mul_f32_e32 v15, v6, v15
	v_add_lshl_u32 v12, v12, v4, 2
	s_delay_alu instid0(VALU_DEP_4) | instskip(NEXT) | instid1(VALU_DEP_4)
	v_mul_f32_e32 v24, v24, v24
	v_cvt_f32_u32_e32 v9, v9
	s_delay_alu instid0(VALU_DEP_4) | instskip(NEXT) | instid1(VALU_DEP_2)
	v_fmac_f32_e32 v15, v1, v3
	v_div_scale_f32 v11, null, v9, v9, 1.0
	v_div_scale_f32 v19, vcc_lo, 1.0, v9, 1.0
	s_delay_alu instid0(VALU_DEP_2) | instskip(SKIP_2) | instid1(VALU_DEP_1)
	v_rcp_f32_e32 v13, v11
	s_waitcnt_depctr 0xfff
	v_fma_f32 v16, -v11, v13, 1.0
	v_fmac_f32_e32 v13, v16, v13
	s_delay_alu instid0(VALU_DEP_1) | instskip(NEXT) | instid1(VALU_DEP_1)
	v_dual_mul_f32 v20, v19, v13 :: v_dual_lshlrev_b32 v7, 3, v7
	v_add_lshl_u32 v7, v7, v4, 2
	s_delay_alu instid0(VALU_DEP_2) | instskip(SKIP_2) | instid1(VALU_DEP_1)
	v_fma_f32 v22, -v11, v20, v19
	ds_bpermute_b32 v10, v7, v8
	v_fmac_f32_e32 v20, v22, v13
	v_fma_f32 v11, -v11, v20, v19
	s_delay_alu instid0(VALU_DEP_1) | instskip(NEXT) | instid1(VALU_DEP_1)
	v_div_fmas_f32 v11, v11, v13, v20
	v_div_fixup_f32 v9, v11, v9, 1.0
	s_waitcnt lgkmcnt(0)
	v_add_nc_u32_e32 v14, v10, v8
	v_cvt_f32_i32_e32 v8, v8
	s_delay_alu instid0(VALU_DEP_3) | instskip(NEXT) | instid1(VALU_DEP_3)
	v_dual_mul_f32 v6, v24, v6 :: v_dual_mul_f32 v15, v9, v15
	v_max_i32_e32 v17, 1, v14
	s_delay_alu instid0(VALU_DEP_1) | instskip(SKIP_2) | instid1(VALU_DEP_3)
	v_cvt_f32_u32_e32 v16, v17
	v_cndmask_b32_e64 v17, 0, 1, s0
	v_cmp_ne_u32_e64 s0, 31, v4
	v_div_scale_f32 v21, null, v16, v16, 1.0
	v_div_scale_f32 v13, vcc_lo, 1.0, v16, 1.0
	s_delay_alu instid0(VALU_DEP_4) | instskip(NEXT) | instid1(VALU_DEP_3)
	v_lshlrev_b32_e32 v17, 1, v17
	v_rcp_f32_e32 v23, v21
	v_add_co_ci_u32_e64 v26, s0, 0, v4, s0
	s_delay_alu instid0(VALU_DEP_2) | instskip(SKIP_2) | instid1(VALU_DEP_1)
	v_add_lshl_u32 v17, v17, v4, 2
	s_waitcnt_depctr 0xfff
	v_fma_f32 v19, -v21, v23, 1.0
	v_fmac_f32_e32 v23, v19, v23
	ds_bpermute_b32 v18, v12, v14
	v_mul_f32_e32 v11, v13, v23
	s_delay_alu instid0(VALU_DEP_1) | instskip(SKIP_2) | instid1(VALU_DEP_1)
	v_fma_f32 v20, -v21, v11, v13
	s_waitcnt lgkmcnt(0)
	v_add_nc_u32_e32 v22, v18, v14
	v_max_i32_e32 v25, 1, v22
	s_delay_alu instid0(VALU_DEP_1) | instskip(SKIP_2) | instid1(VALU_DEP_1)
	v_cvt_f32_u32_e32 v1, v25
	ds_bpermute_b32 v25, v7, v15
	v_div_scale_f32 v19, null, v1, v1, 1.0
	v_rcp_f32_e32 v24, v19
	v_mul_f32_e32 v3, v6, v3
	ds_bpermute_b32 v6, v17, v22
	v_fmac_f32_e32 v11, v20, v23
	v_mul_f32_e32 v3, v9, v3
	v_cvt_f32_i32_e32 v9, v10
	v_div_scale_f32 v10, s0, 1.0, v1, 1.0
	s_delay_alu instid0(VALU_DEP_3) | instskip(SKIP_1) | instid1(VALU_DEP_2)
	v_add_f32_e32 v3, v3, v5
	v_fma_f32 v5, -v19, v24, 1.0
	v_add_f32_e32 v2, v2, v3
	s_waitcnt lgkmcnt(1)
	s_delay_alu instid0(VALU_DEP_2)
	v_dual_fmac_f32 v24, v5, v24 :: v_dual_sub_f32 v5, v15, v25
	ds_bpermute_b32 v7, v7, v2
	s_waitcnt lgkmcnt(1)
	v_add_nc_u32_e32 v20, v6, v22
	v_fma_f32 v13, -v21, v11, v13
	v_mul_f32_e32 v5, v5, v5
	v_cvt_f32_i32_e32 v6, v6
	s_delay_alu instid0(VALU_DEP_3)
	v_div_fmas_f32 v11, v13, v23, v11
	v_mul_f32_e32 v13, v15, v8
	v_mul_f32_e32 v15, v10, v24
	s_mov_b32 vcc_lo, s0
	s_mov_b32 s0, exec_lo
	v_div_fixup_f32 v3, v11, v16, 1.0
	v_max_i32_e32 v11, 1, v20
	v_mul_f32_e32 v5, v5, v9
	v_fma_f32 v21, -v19, v15, v10
	v_lshlrev_b32_e32 v16, 2, v26
	s_delay_alu instid0(VALU_DEP_4) | instskip(NEXT) | instid1(VALU_DEP_4)
	v_cvt_f32_u32_e32 v11, v11
	v_mul_f32_e32 v5, v5, v8
	v_cvt_f32_i32_e32 v8, v14
	v_cvt_f32_i32_e32 v14, v18
	v_fmac_f32_e32 v15, v21, v24
	v_div_scale_f32 v23, null, v11, v11, 1.0
	s_delay_alu instid0(VALU_DEP_2) | instskip(NEXT) | instid1(VALU_DEP_2)
	v_fma_f32 v10, -v19, v15, v10
	v_rcp_f32_e32 v18, v23
	s_delay_alu instid0(VALU_DEP_1) | instskip(NEXT) | instid1(VALU_DEP_1)
	v_div_fmas_f32 v10, v10, v24, v15
	v_div_fixup_f32 v1, v10, v1, 1.0
	s_waitcnt_depctr 0xfff
	v_fma_f32 v19, -v23, v18, 1.0
	s_delay_alu instid0(VALU_DEP_1) | instskip(NEXT) | instid1(VALU_DEP_1)
	v_dual_fmac_f32 v13, v9, v25 :: v_dual_fmac_f32 v18, v19, v18
	v_mul_f32_e32 v13, v3, v13
	v_mul_f32_e32 v3, v3, v5
	ds_bpermute_b32 v5, v16, v20
	ds_bpermute_b32 v9, v12, v13
	s_waitcnt lgkmcnt(2)
	v_add_f32_e32 v3, v3, v7
	v_mul_f32_e32 v15, v13, v8
	v_div_scale_f32 v7, vcc_lo, 1.0, v11, 1.0
	s_waitcnt lgkmcnt(0)
	s_delay_alu instid0(VALU_DEP_3) | instskip(NEXT) | instid1(VALU_DEP_3)
	v_dual_add_f32 v2, v2, v3 :: v_dual_sub_f32 v3, v13, v9
	v_fmac_f32_e32 v15, v14, v9
	ds_bpermute_b32 v9, v12, v2
	v_mul_f32_e32 v13, v7, v18
	v_mul_f32_e32 v10, v3, v3
	v_mul_f32_e32 v12, v1, v15
	s_delay_alu instid0(VALU_DEP_3) | instskip(NEXT) | instid1(VALU_DEP_3)
	v_fma_f32 v15, -v23, v13, v7
	v_mul_f32_e32 v10, v10, v14
	ds_bpermute_b32 v14, v17, v12
	v_dual_fmac_f32 v13, v15, v18 :: v_dual_mul_f32 v8, v10, v8
	v_cvt_f32_i32_e32 v10, v22
	s_delay_alu instid0(VALU_DEP_2) | instskip(NEXT) | instid1(VALU_DEP_3)
	v_fma_f32 v7, -v23, v13, v7
	v_mul_f32_e32 v1, v1, v8
	s_delay_alu instid0(VALU_DEP_2) | instskip(SKIP_1) | instid1(VALU_DEP_2)
	v_div_fmas_f32 v7, v7, v18, v13
	s_waitcnt lgkmcnt(1)
	v_add_f32_e32 v1, v1, v9
	v_mul_f32_e32 v9, v12, v10
	s_delay_alu instid0(VALU_DEP_3) | instskip(SKIP_1) | instid1(VALU_DEP_3)
	v_div_fixup_f32 v7, v7, v11, 1.0
	s_waitcnt lgkmcnt(0)
	v_dual_add_f32 v1, v2, v1 :: v_dual_sub_f32 v2, v12, v14
	s_delay_alu instid0(VALU_DEP_3) | instskip(SKIP_2) | instid1(VALU_DEP_1)
	v_fmac_f32_e32 v9, v6, v14
	ds_bpermute_b32 v11, v17, v1
	v_dual_mul_f32 v2, v2, v2 :: v_dual_mul_f32 v9, v7, v9
	v_mul_f32_e32 v2, v2, v6
	ds_bpermute_b32 v13, v16, v9
	v_mul_f32_e32 v2, v2, v10
	s_delay_alu instid0(VALU_DEP_1) | instskip(SKIP_1) | instid1(VALU_DEP_1)
	v_mul_f32_e32 v2, v7, v2
	s_waitcnt lgkmcnt(1)
	v_add_f32_e32 v2, v2, v11
	s_delay_alu instid0(VALU_DEP_1) | instskip(SKIP_4) | instid1(VALU_DEP_3)
	v_add_f32_e32 v2, v1, v2
	v_add_nc_u32_e32 v3, v5, v20
	s_waitcnt lgkmcnt(0)
	v_sub_f32_e32 v1, v9, v13
	v_cvt_f32_i32_e32 v5, v5
	v_max_i32_e32 v19, 1, v3
	s_delay_alu instid0(VALU_DEP_3) | instskip(NEXT) | instid1(VALU_DEP_2)
	v_mul_f32_e32 v1, v1, v1
	v_cvt_f32_u32_e32 v15, v19
	s_delay_alu instid0(VALU_DEP_2) | instskip(NEXT) | instid1(VALU_DEP_2)
	v_mul_f32_e32 v1, v1, v5
	v_div_scale_f32 v8, null, v15, v15, 1.0
	v_div_scale_f32 v10, vcc_lo, 1.0, v15, 1.0
	s_delay_alu instid0(VALU_DEP_2) | instskip(SKIP_2) | instid1(VALU_DEP_1)
	v_rcp_f32_e32 v12, v8
	s_waitcnt_depctr 0xfff
	v_fma_f32 v6, -v8, v12, 1.0
	v_fmac_f32_e32 v12, v6, v12
	s_delay_alu instid0(VALU_DEP_1) | instskip(NEXT) | instid1(VALU_DEP_1)
	v_mul_f32_e32 v6, v10, v12
	v_fma_f32 v7, -v8, v6, v10
	s_delay_alu instid0(VALU_DEP_1) | instskip(SKIP_2) | instid1(VALU_DEP_1)
	v_fmac_f32_e32 v6, v7, v12
	ds_bpermute_b32 v7, v16, v2
	v_fma_f32 v8, -v8, v6, v10
	v_div_fmas_f32 v6, v8, v12, v6
	v_cvt_f32_i32_e32 v8, v20
	s_delay_alu instid0(VALU_DEP_2) | instskip(NEXT) | instid1(VALU_DEP_2)
	v_div_fixup_f32 v6, v6, v15, 1.0
	v_mul_f32_e32 v9, v9, v8
	v_mul_f32_e32 v1, v1, v8
	s_delay_alu instid0(VALU_DEP_2) | instskip(SKIP_1) | instid1(VALU_DEP_2)
	v_fmac_f32_e32 v9, v5, v13
	s_waitcnt lgkmcnt(0)
	v_fmac_f32_e32 v7, v6, v1
	v_and_b32_e32 v5, 31, v0
	s_delay_alu instid0(VALU_DEP_3) | instskip(NEXT) | instid1(VALU_DEP_3)
	v_mul_f32_e32 v1, v6, v9
	v_add_f32_e32 v2, v2, v7
	s_delay_alu instid0(VALU_DEP_3)
	v_cmpx_eq_u32_e32 0, v5
	s_cbranch_execz .LBB0_11
; %bb.10:
	v_lshrrev_b32_e32 v6, 2, v0
	v_lshrrev_b32_e32 v7, 3, v0
	ds_store_2addr_b32 v6, v1, v2 offset0:32 offset1:33
	ds_store_b32 v7, v3
.LBB0_11:
	s_or_b32 exec_lo, exec_lo, s0
	s_delay_alu instid0(SALU_CYCLE_1)
	s_mov_b32 s0, exec_lo
	s_waitcnt lgkmcnt(0)
	s_barrier
	buffer_gl0_inv
	v_cmpx_gt_u32_e32 32, v0
	s_cbranch_execz .LBB0_17
; %bb.12:
	s_lshr_b32 s1, s1, 5
	v_dual_mov_b32 v3, 0 :: v_dual_mov_b32 v2, 0
	v_cmp_gt_u32_e32 vcc_lo, s1, v0
	v_mov_b32_e32 v1, 0
	s_and_saveexec_b32 s1, vcc_lo
	s_cbranch_execz .LBB0_14
; %bb.13:
	v_lshlrev_b32_e32 v1, 3, v0
	ds_load_b64 v[1:2], v1 offset:128
.LBB0_14:
	s_or_b32 exec_lo, exec_lo, s1
	s_and_saveexec_b32 s1, vcc_lo
	s_cbranch_execz .LBB0_16
; %bb.15:
	v_lshlrev_b32_e32 v3, 2, v5
	ds_load_b32 v3, v3
.LBB0_16:
	s_or_b32 exec_lo, exec_lo, s1
.LBB0_17:
	s_delay_alu instid0(SALU_CYCLE_1)
	s_or_b32 exec_lo, exec_lo, s0
.LBB0_18:
	s_delay_alu instid0(SALU_CYCLE_1)
	s_mov_b32 s3, exec_lo
	v_cmpx_gt_u32_e32 32, v0
	s_cbranch_execz .LBB0_20
; %bb.19:
	v_cmp_gt_u32_e32 vcc_lo, 16, v4
	v_cmp_gt_u32_e64 s0, 30, v4
	v_cndmask_b32_e64 v5, 0, 1, vcc_lo
	v_cmp_gt_u32_e32 vcc_lo, 24, v4
	s_delay_alu instid0(VALU_DEP_3) | instskip(NEXT) | instid1(VALU_DEP_3)
	v_cndmask_b32_e64 v19, 0, 1, s0
	v_lshlrev_b32_e32 v5, 4, v5
	v_cndmask_b32_e64 v7, 0, 1, vcc_lo
	v_cmp_gt_u32_e32 vcc_lo, 28, v4
	s_delay_alu instid0(VALU_DEP_3)
	v_add_lshl_u32 v5, v5, v4, 2
	v_cndmask_b32_e64 v12, 0, 1, vcc_lo
	s_waitcnt lgkmcnt(0)
	ds_bpermute_b32 v6, v5, v3
	ds_bpermute_b32 v16, v5, v1
	;; [unrolled: 1-line block ×3, first 2 shown]
	s_waitcnt lgkmcnt(1)
	v_dual_sub_f32 v23, v1, v16 :: v_dual_add_nc_u32 v8, v6, v3
	v_cvt_f32_i32_e32 v6, v6
	v_cvt_f32_i32_e32 v3, v3
	s_delay_alu instid0(VALU_DEP_3) | instskip(NEXT) | instid1(VALU_DEP_3)
	v_max_i32_e32 v9, 1, v8
	v_mul_f32_e32 v16, v6, v16
	s_delay_alu instid0(VALU_DEP_2) | instskip(NEXT) | instid1(VALU_DEP_1)
	v_cvt_f32_u32_e32 v9, v9
	v_div_scale_f32 v11, null, v9, v9, 1.0
	v_div_scale_f32 v17, vcc_lo, 1.0, v9, 1.0
	s_delay_alu instid0(VALU_DEP_2) | instskip(SKIP_2) | instid1(VALU_DEP_1)
	v_rcp_f32_e32 v13, v11
	s_waitcnt_depctr 0xfff
	v_fma_f32 v14, -v11, v13, 1.0
	v_dual_fmac_f32 v13, v14, v13 :: v_dual_lshlrev_b32 v12, 2, v12
	v_lshlrev_b32_e32 v7, 3, v7
	s_delay_alu instid0(VALU_DEP_2) | instskip(NEXT) | instid1(VALU_DEP_3)
	v_add_lshl_u32 v12, v12, v4, 2
	v_mul_f32_e32 v20, v17, v13
	s_delay_alu instid0(VALU_DEP_3) | instskip(NEXT) | instid1(VALU_DEP_2)
	v_add_lshl_u32 v7, v7, v4, 2
	v_fma_f32 v21, -v11, v20, v17
	ds_bpermute_b32 v10, v7, v8
	v_fmac_f32_e32 v20, v21, v13
	s_delay_alu instid0(VALU_DEP_1) | instskip(NEXT) | instid1(VALU_DEP_1)
	v_fma_f32 v11, -v11, v20, v17
	v_div_fmas_f32 v11, v11, v13, v20
	v_mul_f32_e32 v13, v23, v23
	v_lshlrev_b32_e32 v19, 1, v19
	s_delay_alu instid0(VALU_DEP_3) | instskip(SKIP_1) | instid1(VALU_DEP_3)
	v_div_fixup_f32 v9, v11, v9, 1.0
	s_waitcnt lgkmcnt(0)
	v_dual_mul_f32 v6, v13, v6 :: v_dual_add_nc_u32 v15, v10, v8
	s_delay_alu instid0(VALU_DEP_3) | instskip(SKIP_1) | instid1(VALU_DEP_3)
	v_add_lshl_u32 v19, v19, v4, 2
	v_cvt_f32_i32_e32 v8, v8
	v_max_i32_e32 v14, 1, v15
	ds_bpermute_b32 v18, v12, v15
	v_cvt_f32_u32_e32 v14, v14
	s_delay_alu instid0(VALU_DEP_1) | instskip(SKIP_2) | instid1(VALU_DEP_3)
	v_div_scale_f32 v22, null, v14, v14, 1.0
	v_div_scale_f32 v11, vcc_lo, 1.0, v14, 1.0
	v_fmac_f32_e32 v16, v1, v3
	v_rcp_f32_e32 v21, v22
	s_waitcnt lgkmcnt(0)
	v_add_nc_u32_e32 v17, v18, v15
	v_mul_f32_e32 v3, v6, v3
	v_cvt_f32_i32_e32 v18, v18
	s_waitcnt_depctr 0xfff
	v_fma_f32 v1, -v22, v21, 1.0
	v_max_i32_e32 v20, 1, v17
	v_fmac_f32_e32 v5, v9, v3
	v_cvt_f32_i32_e32 v3, v10
	s_delay_alu instid0(VALU_DEP_4) | instskip(NEXT) | instid1(VALU_DEP_4)
	v_fmac_f32_e32 v21, v1, v21
	v_cvt_f32_u32_e32 v20, v20
	s_delay_alu instid0(VALU_DEP_4) | instskip(NEXT) | instid1(VALU_DEP_3)
	v_add_f32_e32 v2, v2, v5
	v_mul_f32_e32 v13, v11, v21
	s_delay_alu instid0(VALU_DEP_3) | instskip(SKIP_1) | instid1(VALU_DEP_3)
	v_div_scale_f32 v24, null, v20, v20, 1.0
	v_mul_f32_e32 v23, v9, v16
	v_fma_f32 v6, -v22, v13, v11
	s_delay_alu instid0(VALU_DEP_3) | instskip(SKIP_4) | instid1(VALU_DEP_2)
	v_rcp_f32_e32 v26, v24
	ds_bpermute_b32 v25, v7, v23
	ds_bpermute_b32 v7, v7, v2
	v_fmac_f32_e32 v13, v6, v21
	v_div_scale_f32 v6, s0, 1.0, v20, 1.0
	v_fma_f32 v5, -v22, v13, v11
	v_fma_f32 v11, -v24, v26, 1.0
	s_delay_alu instid0(VALU_DEP_2) | instskip(NEXT) | instid1(VALU_DEP_2)
	v_div_fmas_f32 v5, v5, v21, v13
	v_fmac_f32_e32 v26, v11, v26
	ds_bpermute_b32 v1, v19, v17
	v_cmp_ne_u32_e32 vcc_lo, 31, v4
	v_div_fixup_f32 v5, v5, v14, 1.0
	v_mul_f32_e32 v14, v6, v26
	s_waitcnt lgkmcnt(2)
	v_fma_f32 v9, v9, v16, -v25
	v_add_co_ci_u32_e32 v4, vcc_lo, 0, v4, vcc_lo
	s_mov_b32 vcc_lo, s0
	s_delay_alu instid0(VALU_DEP_1) | instskip(SKIP_4) | instid1(VALU_DEP_3)
	v_dual_mul_f32 v9, v9, v9 :: v_dual_lshlrev_b32 v4, 2, v4
	s_waitcnt lgkmcnt(0)
	v_add_nc_u32_e32 v10, v1, v17
	v_cvt_f32_i32_e32 v17, v17
	v_cvt_f32_i32_e32 v1, v1
	v_max_i32_e32 v21, 1, v10
	s_delay_alu instid0(VALU_DEP_1) | instskip(SKIP_1) | instid1(VALU_DEP_2)
	v_cvt_f32_u32_e32 v11, v21
	v_fma_f32 v21, -v24, v14, v6
	v_div_scale_f32 v16, null, v11, v11, 1.0
	s_delay_alu instid0(VALU_DEP_2) | instskip(NEXT) | instid1(VALU_DEP_2)
	v_fmac_f32_e32 v14, v21, v26
	v_rcp_f32_e32 v22, v16
	v_mul_f32_e32 v13, v3, v25
	v_mul_f32_e32 v3, v9, v3
	s_delay_alu instid0(VALU_DEP_1) | instskip(NEXT) | instid1(VALU_DEP_1)
	v_mul_f32_e32 v3, v3, v8
	v_fmac_f32_e32 v7, v5, v3
	v_fma_f32 v3, -v24, v14, v6
	s_waitcnt_depctr 0xfff
	v_fma_f32 v6, -v16, v22, 1.0
	v_add_f32_e32 v2, v2, v7
	v_div_fmas_f32 v3, v3, v26, v14
	s_delay_alu instid0(VALU_DEP_3)
	v_dual_fmac_f32 v22, v6, v22 :: v_dual_fmac_f32 v13, v23, v8
	v_cvt_f32_i32_e32 v8, v15
	ds_bpermute_b32 v15, v4, v10
	ds_bpermute_b32 v6, v12, v2
	v_mul_f32_e32 v13, v5, v13
	v_div_scale_f32 v5, s1, 1.0, v11, 1.0
	s_delay_alu instid0(VALU_DEP_1)
	s_mov_b32 vcc_lo, s1
	ds_bpermute_b32 v9, v12, v13
	v_mul_f32_e32 v7, v13, v8
	s_waitcnt lgkmcnt(0)
	v_sub_f32_e32 v12, v13, v9
	v_div_fixup_f32 v13, v3, v20, 1.0
	s_delay_alu instid0(VALU_DEP_2) | instskip(NEXT) | instid1(VALU_DEP_1)
	v_mul_f32_e32 v12, v12, v12
	v_mul_f32_e32 v12, v12, v18
	s_delay_alu instid0(VALU_DEP_1) | instskip(SKIP_1) | instid1(VALU_DEP_2)
	v_dual_mul_f32 v8, v12, v8 :: v_dual_fmac_f32 v7, v18, v9
	v_mul_f32_e32 v9, v5, v22
	v_dual_fmac_f32 v6, v13, v8 :: v_dual_add_nc_u32 v3, v15, v10
	s_delay_alu instid0(VALU_DEP_3) | instskip(NEXT) | instid1(VALU_DEP_3)
	v_mul_f32_e32 v14, v13, v7
	v_fma_f32 v20, -v16, v9, v5
	s_delay_alu instid0(VALU_DEP_3) | instskip(NEXT) | instid1(VALU_DEP_4)
	v_add_f32_e32 v2, v2, v6
	v_max_i32_e32 v18, 1, v3
	ds_bpermute_b32 v21, v19, v14
	v_dual_mul_f32 v6, v14, v17 :: v_dual_fmac_f32 v9, v20, v22
	v_cvt_f32_u32_e32 v12, v18
	s_delay_alu instid0(VALU_DEP_1) | instskip(SKIP_1) | instid1(VALU_DEP_3)
	v_div_scale_f32 v8, null, v12, v12, 1.0
	s_waitcnt lgkmcnt(0)
	v_fmac_f32_e32 v6, v1, v21
	v_fma_f32 v5, -v16, v9, v5
	v_fma_f32 v7, v13, v7, -v21
	s_delay_alu instid0(VALU_DEP_2) | instskip(SKIP_2) | instid1(VALU_DEP_2)
	v_div_fmas_f32 v5, v5, v22, v9
	v_rcp_f32_e32 v9, v8
	v_div_scale_f32 v14, vcc_lo, 1.0, v12, 1.0
	v_div_fixup_f32 v5, v5, v11, 1.0
	ds_bpermute_b32 v11, v19, v2
	v_dual_mul_f32 v7, v7, v7 :: v_dual_mul_f32 v6, v5, v6
	v_fma_f32 v13, -v8, v9, 1.0
	s_delay_alu instid0(VALU_DEP_2) | instskip(SKIP_3) | instid1(VALU_DEP_2)
	v_mul_f32_e32 v1, v7, v1
	ds_bpermute_b32 v7, v4, v6
	v_fmac_f32_e32 v9, v13, v9
	v_mul_f32_e32 v1, v1, v17
	v_mul_f32_e32 v13, v14, v9
	s_waitcnt lgkmcnt(1)
	s_delay_alu instid0(VALU_DEP_2) | instskip(NEXT) | instid1(VALU_DEP_2)
	v_fmac_f32_e32 v11, v5, v1
	v_fma_f32 v1, -v8, v13, v14
	s_delay_alu instid0(VALU_DEP_1)
	v_dual_add_f32 v2, v2, v11 :: v_dual_fmac_f32 v13, v1, v9
	s_waitcnt lgkmcnt(0)
	v_sub_f32_e32 v1, v6, v7
	ds_bpermute_b32 v4, v4, v2
	v_fma_f32 v5, -v8, v13, v14
	v_cvt_f32_i32_e32 v8, v15
	v_mul_f32_e32 v1, v1, v1
	s_delay_alu instid0(VALU_DEP_3) | instskip(SKIP_1) | instid1(VALU_DEP_3)
	v_div_fmas_f32 v5, v5, v9, v13
	v_cvt_f32_i32_e32 v9, v10
	v_mul_f32_e32 v1, v1, v8
	s_delay_alu instid0(VALU_DEP_3) | instskip(NEXT) | instid1(VALU_DEP_3)
	v_div_fixup_f32 v5, v5, v12, 1.0
	v_mul_f32_e32 v6, v6, v9
	s_delay_alu instid0(VALU_DEP_1) | instskip(SKIP_1) | instid1(VALU_DEP_1)
	v_dual_mul_f32 v1, v1, v9 :: v_dual_fmac_f32 v6, v8, v7
	s_waitcnt lgkmcnt(0)
	v_fmac_f32_e32 v4, v5, v1
	s_delay_alu instid0(VALU_DEP_1)
	v_dual_mul_f32 v1, v5, v6 :: v_dual_add_f32 v2, v2, v4
.LBB0_20:
	s_or_b32 exec_lo, exec_lo, s3
	s_mov_b32 s3, 0
	s_mov_b32 s0, exec_lo
	v_cmpx_eq_u32_e32 0, v0
	s_cbranch_execz .LBB0_22
; %bb.21:
	s_waitcnt lgkmcnt(0)
	v_cvt_f32_i32_e32 v0, v3
	s_lshl_b64 s[0:1], s[2:3], 2
	s_delay_alu instid0(SALU_CYCLE_1) | instskip(SKIP_1) | instid1(VALU_DEP_1)
	s_add_u32 s2, s4, s0
	s_addc_u32 s3, s5, s1
	v_div_scale_f32 v3, null, v0, v0, v2
	s_add_u32 s0, s6, s0
	s_addc_u32 s1, s7, s1
	s_delay_alu instid0(VALU_DEP_1) | instskip(SKIP_2) | instid1(VALU_DEP_1)
	v_rcp_f32_e32 v4, v3
	s_waitcnt_depctr 0xfff
	v_fma_f32 v5, -v3, v4, 1.0
	v_fmac_f32_e32 v4, v5, v4
	v_div_scale_f32 v5, vcc_lo, v2, v0, v2
	s_delay_alu instid0(VALU_DEP_1) | instskip(NEXT) | instid1(VALU_DEP_1)
	v_mul_f32_e32 v6, v5, v4
	v_fma_f32 v7, -v3, v6, v5
	s_delay_alu instid0(VALU_DEP_1) | instskip(NEXT) | instid1(VALU_DEP_1)
	v_fmac_f32_e32 v6, v7, v4
	v_fma_f32 v3, -v3, v6, v5
	s_delay_alu instid0(VALU_DEP_1) | instskip(SKIP_1) | instid1(VALU_DEP_2)
	v_div_fmas_f32 v3, v3, v4, v6
	v_mov_b32_e32 v4, 0
	v_div_fixup_f32 v0, v3, v0, v2
	s_clause 0x1
	global_store_b32 v4, v1, s[2:3]
	global_store_b32 v4, v0, s[0:1]
.LBB0_22:
	s_nop 0
	s_sendmsg sendmsg(MSG_DEALLOC_VGPRS)
	s_endpgm
	.section	.rodata,"a",@progbits
	.p2align	6, 0x0
	.amdhsa_kernel _Z14welford_kernelIfffEvPKT_PT1_S4_iii
		.amdhsa_group_segment_fixed_size 640
		.amdhsa_private_segment_fixed_size 0
		.amdhsa_kernarg_size 296
		.amdhsa_user_sgpr_count 15
		.amdhsa_user_sgpr_dispatch_ptr 0
		.amdhsa_user_sgpr_queue_ptr 0
		.amdhsa_user_sgpr_kernarg_segment_ptr 1
		.amdhsa_user_sgpr_dispatch_id 0
		.amdhsa_user_sgpr_private_segment_size 0
		.amdhsa_wavefront_size32 1
		.amdhsa_uses_dynamic_stack 0
		.amdhsa_enable_private_segment 0
		.amdhsa_system_sgpr_workgroup_id_x 1
		.amdhsa_system_sgpr_workgroup_id_y 0
		.amdhsa_system_sgpr_workgroup_id_z 0
		.amdhsa_system_sgpr_workgroup_info 0
		.amdhsa_system_vgpr_workitem_id 1
		.amdhsa_next_free_vgpr 27
		.amdhsa_next_free_sgpr 17
		.amdhsa_reserve_vcc 1
		.amdhsa_float_round_mode_32 0
		.amdhsa_float_round_mode_16_64 0
		.amdhsa_float_denorm_mode_32 3
		.amdhsa_float_denorm_mode_16_64 3
		.amdhsa_dx10_clamp 1
		.amdhsa_ieee_mode 1
		.amdhsa_fp16_overflow 0
		.amdhsa_workgroup_processor_mode 1
		.amdhsa_memory_ordered 1
		.amdhsa_forward_progress 0
		.amdhsa_shared_vgpr_count 0
		.amdhsa_exception_fp_ieee_invalid_op 0
		.amdhsa_exception_fp_denorm_src 0
		.amdhsa_exception_fp_ieee_div_zero 0
		.amdhsa_exception_fp_ieee_overflow 0
		.amdhsa_exception_fp_ieee_underflow 0
		.amdhsa_exception_fp_ieee_inexact 0
		.amdhsa_exception_int_div_zero 0
	.end_amdhsa_kernel
	.section	.text._Z14welford_kernelIfffEvPKT_PT1_S4_iii,"axG",@progbits,_Z14welford_kernelIfffEvPKT_PT1_S4_iii,comdat
.Lfunc_end0:
	.size	_Z14welford_kernelIfffEvPKT_PT1_S4_iii, .Lfunc_end0-_Z14welford_kernelIfffEvPKT_PT1_S4_iii
                                        ; -- End function
	.section	.AMDGPU.csdata,"",@progbits
; Kernel info:
; codeLenInByte = 3004
; NumSgprs: 19
; NumVgprs: 27
; ScratchSize: 0
; MemoryBound: 0
; FloatMode: 240
; IeeeMode: 1
; LDSByteSize: 640 bytes/workgroup (compile time only)
; SGPRBlocks: 2
; VGPRBlocks: 3
; NumSGPRsForWavesPerEU: 19
; NumVGPRsForWavesPerEU: 27
; Occupancy: 16
; WaveLimiterHint : 0
; COMPUTE_PGM_RSRC2:SCRATCH_EN: 0
; COMPUTE_PGM_RSRC2:USER_SGPR: 15
; COMPUTE_PGM_RSRC2:TRAP_HANDLER: 0
; COMPUTE_PGM_RSRC2:TGID_X_EN: 1
; COMPUTE_PGM_RSRC2:TGID_Y_EN: 0
; COMPUTE_PGM_RSRC2:TGID_Z_EN: 0
; COMPUTE_PGM_RSRC2:TIDIG_COMP_CNT: 1
	.text
	.p2alignl 7, 3214868480
	.fill 96, 4, 3214868480
	.type	__hip_cuid_778f502406848714,@object ; @__hip_cuid_778f502406848714
	.section	.bss,"aw",@nobits
	.globl	__hip_cuid_778f502406848714
__hip_cuid_778f502406848714:
	.byte	0                               ; 0x0
	.size	__hip_cuid_778f502406848714, 1

	.ident	"AMD clang version 19.0.0git (https://github.com/RadeonOpenCompute/llvm-project roc-6.4.0 25133 c7fe45cf4b819c5991fe208aaa96edf142730f1d)"
	.section	".note.GNU-stack","",@progbits
	.addrsig
	.addrsig_sym __hip_cuid_778f502406848714
	.amdgpu_metadata
---
amdhsa.kernels:
  - .args:
      - .actual_access:  read_only
        .address_space:  global
        .offset:         0
        .size:           8
        .value_kind:     global_buffer
      - .actual_access:  write_only
        .address_space:  global
        .offset:         8
        .size:           8
        .value_kind:     global_buffer
      - .actual_access:  write_only
        .address_space:  global
        .offset:         16
        .size:           8
        .value_kind:     global_buffer
      - .offset:         24
        .size:           4
        .value_kind:     by_value
      - .offset:         28
        .size:           4
        .value_kind:     by_value
      - .offset:         32
        .size:           4
        .value_kind:     by_value
      - .offset:         40
        .size:           4
        .value_kind:     hidden_block_count_x
      - .offset:         44
        .size:           4
        .value_kind:     hidden_block_count_y
      - .offset:         48
        .size:           4
        .value_kind:     hidden_block_count_z
      - .offset:         52
        .size:           2
        .value_kind:     hidden_group_size_x
      - .offset:         54
        .size:           2
        .value_kind:     hidden_group_size_y
      - .offset:         56
        .size:           2
        .value_kind:     hidden_group_size_z
      - .offset:         58
        .size:           2
        .value_kind:     hidden_remainder_x
      - .offset:         60
        .size:           2
        .value_kind:     hidden_remainder_y
      - .offset:         62
        .size:           2
        .value_kind:     hidden_remainder_z
      - .offset:         80
        .size:           8
        .value_kind:     hidden_global_offset_x
      - .offset:         88
        .size:           8
        .value_kind:     hidden_global_offset_y
      - .offset:         96
        .size:           8
        .value_kind:     hidden_global_offset_z
      - .offset:         104
        .size:           2
        .value_kind:     hidden_grid_dims
    .group_segment_fixed_size: 640
    .kernarg_segment_align: 8
    .kernarg_segment_size: 296
    .language:       OpenCL C
    .language_version:
      - 2
      - 0
    .max_flat_workgroup_size: 1024
    .name:           _Z14welford_kernelIfffEvPKT_PT1_S4_iii
    .private_segment_fixed_size: 0
    .sgpr_count:     19
    .sgpr_spill_count: 0
    .symbol:         _Z14welford_kernelIfffEvPKT_PT1_S4_iii.kd
    .uniform_work_group_size: 1
    .uses_dynamic_stack: false
    .vgpr_count:     27
    .vgpr_spill_count: 0
    .wavefront_size: 32
    .workgroup_processor_mode: 1
amdhsa.target:   amdgcn-amd-amdhsa--gfx1100
amdhsa.version:
  - 1
  - 2
...

	.end_amdgpu_metadata
